;; amdgpu-corpus repo=ROCm/rocFFT kind=compiled arch=gfx1030 opt=O3
	.text
	.amdgcn_target "amdgcn-amd-amdhsa--gfx1030"
	.amdhsa_code_object_version 6
	.protected	fft_rtc_fwd_len650_factors_10_5_13_wgs_195_tpt_65_dp_ip_CI_unitstride_sbrr_C2R_dirReg ; -- Begin function fft_rtc_fwd_len650_factors_10_5_13_wgs_195_tpt_65_dp_ip_CI_unitstride_sbrr_C2R_dirReg
	.globl	fft_rtc_fwd_len650_factors_10_5_13_wgs_195_tpt_65_dp_ip_CI_unitstride_sbrr_C2R_dirReg
	.p2align	8
	.type	fft_rtc_fwd_len650_factors_10_5_13_wgs_195_tpt_65_dp_ip_CI_unitstride_sbrr_C2R_dirReg,@function
fft_rtc_fwd_len650_factors_10_5_13_wgs_195_tpt_65_dp_ip_CI_unitstride_sbrr_C2R_dirReg: ; @fft_rtc_fwd_len650_factors_10_5_13_wgs_195_tpt_65_dp_ip_CI_unitstride_sbrr_C2R_dirReg
; %bb.0:
	s_load_dwordx4 s[8:11], s[4:5], 0x0
	v_mul_u32_u24_e32 v1, 0x3f1, v0
	s_clause 0x1
	s_load_dwordx2 s[2:3], s[4:5], 0x50
	s_load_dwordx2 s[12:13], s[4:5], 0x18
	v_mov_b32_e32 v5, 0
	v_mov_b32_e32 v3, 0
	;; [unrolled: 1-line block ×3, first 2 shown]
	v_lshrrev_b32_e32 v1, 16, v1
	v_mad_u64_u32 v[1:2], null, s6, 3, v[1:2]
	v_mov_b32_e32 v2, v5
	v_mov_b32_e32 v10, v2
	;; [unrolled: 1-line block ×3, first 2 shown]
	s_waitcnt lgkmcnt(0)
	v_cmp_lt_u64_e64 s0, s[10:11], 2
	s_and_b32 vcc_lo, exec_lo, s0
	s_cbranch_vccnz .LBB0_8
; %bb.1:
	s_load_dwordx2 s[0:1], s[4:5], 0x10
	v_mov_b32_e32 v3, 0
	v_mov_b32_e32 v8, v2
	s_add_u32 s6, s12, 8
	v_mov_b32_e32 v4, 0
	v_mov_b32_e32 v7, v1
	s_addc_u32 s7, s13, 0
	s_mov_b64 s[16:17], 1
	s_waitcnt lgkmcnt(0)
	s_add_u32 s14, s0, 8
	s_addc_u32 s15, s1, 0
.LBB0_2:                                ; =>This Inner Loop Header: Depth=1
	s_load_dwordx2 s[18:19], s[14:15], 0x0
                                        ; implicit-def: $vgpr9_vgpr10
	s_mov_b32 s0, exec_lo
	s_waitcnt lgkmcnt(0)
	v_or_b32_e32 v6, s19, v8
	v_cmpx_ne_u64_e32 0, v[5:6]
	s_xor_b32 s1, exec_lo, s0
	s_cbranch_execz .LBB0_4
; %bb.3:                                ;   in Loop: Header=BB0_2 Depth=1
	v_cvt_f32_u32_e32 v2, s18
	v_cvt_f32_u32_e32 v6, s19
	s_sub_u32 s0, 0, s18
	s_subb_u32 s20, 0, s19
	v_fmac_f32_e32 v2, 0x4f800000, v6
	v_rcp_f32_e32 v2, v2
	v_mul_f32_e32 v2, 0x5f7ffffc, v2
	v_mul_f32_e32 v6, 0x2f800000, v2
	v_trunc_f32_e32 v6, v6
	v_fmac_f32_e32 v2, 0xcf800000, v6
	v_cvt_u32_f32_e32 v6, v6
	v_cvt_u32_f32_e32 v2, v2
	v_mul_lo_u32 v9, s0, v6
	v_mul_hi_u32 v10, s0, v2
	v_mul_lo_u32 v11, s20, v2
	v_add_nc_u32_e32 v9, v10, v9
	v_mul_lo_u32 v10, s0, v2
	v_add_nc_u32_e32 v9, v9, v11
	v_mul_hi_u32 v11, v2, v10
	v_mul_lo_u32 v12, v2, v9
	v_mul_hi_u32 v13, v2, v9
	v_mul_hi_u32 v14, v6, v10
	v_mul_lo_u32 v10, v6, v10
	v_mul_hi_u32 v15, v6, v9
	v_mul_lo_u32 v9, v6, v9
	v_add_co_u32 v11, vcc_lo, v11, v12
	v_add_co_ci_u32_e32 v12, vcc_lo, 0, v13, vcc_lo
	v_add_co_u32 v10, vcc_lo, v11, v10
	v_add_co_ci_u32_e32 v10, vcc_lo, v12, v14, vcc_lo
	v_add_co_ci_u32_e32 v11, vcc_lo, 0, v15, vcc_lo
	v_add_co_u32 v9, vcc_lo, v10, v9
	v_add_co_ci_u32_e32 v10, vcc_lo, 0, v11, vcc_lo
	v_add_co_u32 v2, vcc_lo, v2, v9
	v_add_co_ci_u32_e32 v6, vcc_lo, v6, v10, vcc_lo
	v_mul_hi_u32 v9, s0, v2
	v_mul_lo_u32 v11, s20, v2
	v_mul_lo_u32 v10, s0, v6
	v_add_nc_u32_e32 v9, v9, v10
	v_mul_lo_u32 v10, s0, v2
	v_add_nc_u32_e32 v9, v9, v11
	v_mul_hi_u32 v11, v2, v10
	v_mul_lo_u32 v12, v2, v9
	v_mul_hi_u32 v13, v2, v9
	v_mul_hi_u32 v14, v6, v10
	v_mul_lo_u32 v10, v6, v10
	v_mul_hi_u32 v15, v6, v9
	v_mul_lo_u32 v9, v6, v9
	v_add_co_u32 v11, vcc_lo, v11, v12
	v_add_co_ci_u32_e32 v12, vcc_lo, 0, v13, vcc_lo
	v_add_co_u32 v10, vcc_lo, v11, v10
	v_add_co_ci_u32_e32 v10, vcc_lo, v12, v14, vcc_lo
	v_add_co_ci_u32_e32 v11, vcc_lo, 0, v15, vcc_lo
	v_add_co_u32 v9, vcc_lo, v10, v9
	v_add_co_ci_u32_e32 v10, vcc_lo, 0, v11, vcc_lo
	v_add_co_u32 v2, vcc_lo, v2, v9
	v_add_co_ci_u32_e32 v6, vcc_lo, v6, v10, vcc_lo
	v_mul_hi_u32 v15, v7, v2
	v_mad_u64_u32 v[11:12], null, v8, v2, 0
	v_mad_u64_u32 v[9:10], null, v7, v6, 0
	v_mad_u64_u32 v[13:14], null, v8, v6, 0
	v_add_co_u32 v2, vcc_lo, v15, v9
	v_add_co_ci_u32_e32 v6, vcc_lo, 0, v10, vcc_lo
	v_add_co_u32 v2, vcc_lo, v2, v11
	v_add_co_ci_u32_e32 v2, vcc_lo, v6, v12, vcc_lo
	v_add_co_ci_u32_e32 v6, vcc_lo, 0, v14, vcc_lo
	v_add_co_u32 v2, vcc_lo, v2, v13
	v_add_co_ci_u32_e32 v6, vcc_lo, 0, v6, vcc_lo
	v_mul_lo_u32 v11, s19, v2
	v_mad_u64_u32 v[9:10], null, s18, v2, 0
	v_mul_lo_u32 v12, s18, v6
	v_sub_co_u32 v9, vcc_lo, v7, v9
	v_add3_u32 v10, v10, v12, v11
	v_sub_nc_u32_e32 v11, v8, v10
	v_subrev_co_ci_u32_e64 v11, s0, s19, v11, vcc_lo
	v_add_co_u32 v12, s0, v2, 2
	v_add_co_ci_u32_e64 v13, s0, 0, v6, s0
	v_sub_co_u32 v14, s0, v9, s18
	v_sub_co_ci_u32_e32 v10, vcc_lo, v8, v10, vcc_lo
	v_subrev_co_ci_u32_e64 v11, s0, 0, v11, s0
	v_cmp_le_u32_e32 vcc_lo, s18, v14
	v_cmp_eq_u32_e64 s0, s19, v10
	v_cndmask_b32_e64 v14, 0, -1, vcc_lo
	v_cmp_le_u32_e32 vcc_lo, s19, v11
	v_cndmask_b32_e64 v15, 0, -1, vcc_lo
	v_cmp_le_u32_e32 vcc_lo, s18, v9
	;; [unrolled: 2-line block ×3, first 2 shown]
	v_cndmask_b32_e64 v16, 0, -1, vcc_lo
	v_cmp_eq_u32_e32 vcc_lo, s19, v11
	v_cndmask_b32_e64 v9, v16, v9, s0
	v_cndmask_b32_e32 v11, v15, v14, vcc_lo
	v_add_co_u32 v14, vcc_lo, v2, 1
	v_add_co_ci_u32_e32 v15, vcc_lo, 0, v6, vcc_lo
	v_cmp_ne_u32_e32 vcc_lo, 0, v11
	v_cndmask_b32_e32 v10, v15, v13, vcc_lo
	v_cndmask_b32_e32 v11, v14, v12, vcc_lo
	v_cmp_ne_u32_e32 vcc_lo, 0, v9
	v_cndmask_b32_e32 v10, v6, v10, vcc_lo
	v_cndmask_b32_e32 v9, v2, v11, vcc_lo
.LBB0_4:                                ;   in Loop: Header=BB0_2 Depth=1
	s_andn2_saveexec_b32 s0, s1
	s_cbranch_execz .LBB0_6
; %bb.5:                                ;   in Loop: Header=BB0_2 Depth=1
	v_cvt_f32_u32_e32 v2, s18
	s_sub_i32 s1, 0, s18
	v_rcp_iflag_f32_e32 v2, v2
	v_mul_f32_e32 v2, 0x4f7ffffe, v2
	v_cvt_u32_f32_e32 v2, v2
	v_mul_lo_u32 v6, s1, v2
	v_mul_hi_u32 v6, v2, v6
	v_add_nc_u32_e32 v2, v2, v6
	v_mul_hi_u32 v2, v7, v2
	v_mul_lo_u32 v6, v2, s18
	v_add_nc_u32_e32 v9, 1, v2
	v_sub_nc_u32_e32 v6, v7, v6
	v_subrev_nc_u32_e32 v10, s18, v6
	v_cmp_le_u32_e32 vcc_lo, s18, v6
	v_cndmask_b32_e32 v6, v6, v10, vcc_lo
	v_cndmask_b32_e32 v2, v2, v9, vcc_lo
	v_mov_b32_e32 v10, v5
	v_cmp_le_u32_e32 vcc_lo, s18, v6
	v_add_nc_u32_e32 v9, 1, v2
	v_cndmask_b32_e32 v9, v2, v9, vcc_lo
.LBB0_6:                                ;   in Loop: Header=BB0_2 Depth=1
	s_or_b32 exec_lo, exec_lo, s0
	s_load_dwordx2 s[0:1], s[6:7], 0x0
	v_mul_lo_u32 v2, v10, s18
	v_mul_lo_u32 v6, v9, s19
	v_mad_u64_u32 v[11:12], null, v9, s18, 0
	s_add_u32 s16, s16, 1
	s_addc_u32 s17, s17, 0
	s_add_u32 s6, s6, 8
	s_addc_u32 s7, s7, 0
	;; [unrolled: 2-line block ×3, first 2 shown]
	v_add3_u32 v2, v12, v6, v2
	v_sub_co_u32 v6, vcc_lo, v7, v11
	v_sub_co_ci_u32_e32 v2, vcc_lo, v8, v2, vcc_lo
	s_waitcnt lgkmcnt(0)
	v_mul_lo_u32 v7, s1, v6
	v_mul_lo_u32 v2, s0, v2
	v_mad_u64_u32 v[3:4], null, s0, v6, v[3:4]
	v_cmp_ge_u64_e64 s0, s[16:17], s[10:11]
	s_and_b32 vcc_lo, exec_lo, s0
	v_add3_u32 v4, v7, v4, v2
	s_cbranch_vccnz .LBB0_8
; %bb.7:                                ;   in Loop: Header=BB0_2 Depth=1
	v_mov_b32_e32 v7, v9
	v_mov_b32_e32 v8, v10
	s_branch .LBB0_2
.LBB0_8:
	s_lshl_b64 s[0:1], s[10:11], 3
	v_mul_hi_u32 v2, 0xaaaaaaab, v1
	s_add_u32 s0, s12, s0
	s_addc_u32 s1, s13, s1
	s_load_dwordx2 s[4:5], s[4:5], 0x20
	s_load_dwordx2 s[0:1], s[0:1], 0x0
	v_mul_hi_u32 v5, 0x3f03f04, v0
	v_lshrrev_b32_e32 v2, 1, v2
	v_lshl_add_u32 v6, v2, 1, v2
	v_sub_nc_u32_e32 v1, v1, v6
	s_waitcnt lgkmcnt(0)
	v_cmp_gt_u64_e32 vcc_lo, s[4:5], v[9:10]
	v_mul_lo_u32 v7, s0, v10
	v_mul_lo_u32 v8, s1, v9
	v_mad_u64_u32 v[2:3], null, s0, v9, v[3:4]
	v_mul_u32_u24_e32 v4, 0x41, v5
	v_mul_u32_u24_e32 v1, 0x28b, v1
	v_sub_nc_u32_e32 v52, v0, v4
	v_add3_u32 v3, v8, v3, v7
	v_lshlrev_b32_e32 v32, 4, v1
	v_lshlrev_b64 v[54:55], 4, v[2:3]
	s_and_saveexec_b32 s1, vcc_lo
	s_cbranch_execz .LBB0_12
; %bb.9:
	v_mov_b32_e32 v53, 0
	v_add_co_u32 v0, s0, s2, v54
	v_add_co_ci_u32_e64 v2, s0, s3, v55, s0
	v_lshlrev_b64 v[3:4], 4, v[52:53]
	s_mov_b32 s4, exec_lo
	v_add_co_u32 v20, s0, v0, v3
	v_add_co_ci_u32_e64 v21, s0, v2, v4, s0
	v_lshlrev_b32_e32 v3, 4, v52
	v_add_co_u32 v16, s0, 0x800, v20
	v_add_co_ci_u32_e64 v17, s0, 0, v21, s0
	v_add_co_u32 v24, s0, 0x1000, v20
	v_add_co_ci_u32_e64 v25, s0, 0, v21, s0
	;; [unrolled: 2-line block ×4, first 2 shown]
	s_clause 0x9
	global_load_dwordx4 v[4:7], v[20:21], off
	global_load_dwordx4 v[8:11], v[20:21], off offset:1040
	global_load_dwordx4 v[12:15], v[16:17], off offset:32
	;; [unrolled: 1-line block ×9, first 2 shown]
	v_add3_u32 v3, 0, v32, v3
	s_waitcnt vmcnt(9)
	ds_write_b128 v3, v[4:7]
	s_waitcnt vmcnt(8)
	ds_write_b128 v3, v[8:11] offset:1040
	s_waitcnt vmcnt(7)
	ds_write_b128 v3, v[12:15] offset:2080
	;; [unrolled: 2-line block ×9, first 2 shown]
	v_cmpx_eq_u32_e32 64, v52
	s_cbranch_execz .LBB0_11
; %bb.10:
	v_add_co_u32 v4, s0, 0x2800, v0
	v_add_co_ci_u32_e64 v5, s0, 0, v2, s0
	v_mov_b32_e32 v52, 64
	global_load_dwordx4 v[4:7], v[4:5], off offset:160
	s_waitcnt vmcnt(0)
	ds_write_b128 v3, v[4:7] offset:9376
.LBB0_11:
	s_or_b32 exec_lo, exec_lo, s4
.LBB0_12:
	s_or_b32 exec_lo, exec_lo, s1
	v_lshl_add_u32 v142, v1, 4, 0
	v_lshlrev_b32_e32 v10, 4, v52
	s_waitcnt lgkmcnt(0)
	s_barrier
	buffer_gl0_inv
	s_add_u32 s1, s8, 0x2800
	v_add_nc_u32_e32 v143, v142, v10
	v_sub_nc_u32_e32 v11, v142, v10
	s_addc_u32 s4, s9, 0
	s_mov_b32 s5, exec_lo
	ds_read_b64 v[6:7], v143
	ds_read_b64 v[8:9], v11 offset:10400
                                        ; implicit-def: $vgpr4_vgpr5
	s_waitcnt lgkmcnt(0)
	v_add_f64 v[0:1], v[6:7], v[8:9]
	v_add_f64 v[2:3], v[6:7], -v[8:9]
	v_cmpx_ne_u32_e32 0, v52
	s_xor_b32 s5, exec_lo, s5
	s_cbranch_execz .LBB0_14
; %bb.13:
	v_mov_b32_e32 v53, 0
	v_add_f64 v[14:15], v[6:7], v[8:9]
	v_add_f64 v[16:17], v[6:7], -v[8:9]
	v_lshlrev_b64 v[0:1], 4, v[52:53]
	v_add_co_u32 v0, s0, s1, v0
	v_add_co_ci_u32_e64 v1, s0, s4, v1, s0
	global_load_dwordx4 v[2:5], v[0:1], off
	ds_read_b64 v[0:1], v11 offset:10408
	ds_read_b64 v[12:13], v143 offset:8
	s_waitcnt lgkmcnt(0)
	v_add_f64 v[6:7], v[0:1], v[12:13]
	v_add_f64 v[0:1], v[12:13], -v[0:1]
	s_waitcnt vmcnt(0)
	v_fma_f64 v[8:9], v[16:17], v[4:5], v[14:15]
	v_fma_f64 v[12:13], -v[16:17], v[4:5], v[14:15]
	v_fma_f64 v[14:15], v[6:7], v[4:5], -v[0:1]
	v_fma_f64 v[4:5], v[6:7], v[4:5], v[0:1]
	v_fma_f64 v[0:1], -v[6:7], v[2:3], v[8:9]
	v_fma_f64 v[6:7], v[6:7], v[2:3], v[12:13]
	v_fma_f64 v[8:9], v[16:17], v[2:3], v[14:15]
	;; [unrolled: 1-line block ×3, first 2 shown]
	v_mov_b32_e32 v4, v52
	v_mov_b32_e32 v5, v53
	ds_write_b128 v11, v[6:9] offset:10400
.LBB0_14:
	s_andn2_saveexec_b32 s0, s5
	s_cbranch_execz .LBB0_16
; %bb.15:
	ds_read_b128 v[4:7], v142 offset:5200
	s_waitcnt lgkmcnt(0)
	v_add_f64 v[12:13], v[4:5], v[4:5]
	v_mul_f64 v[14:15], v[6:7], -2.0
	v_mov_b32_e32 v4, 0
	v_mov_b32_e32 v5, 0
	ds_write_b128 v142, v[12:15] offset:5200
.LBB0_16:
	s_or_b32 exec_lo, exec_lo, s0
	v_lshlrev_b64 v[4:5], 4, v[4:5]
	v_add3_u32 v53, 0, v10, v32
	s_mov_b32 s10, 0x134454ff
	s_mov_b32 s11, 0x3fee6f0e
	;; [unrolled: 1-line block ×4, first 2 shown]
	v_add_co_u32 v8, s0, s1, v4
	v_add_co_ci_u32_e64 v9, s0, s4, v5, s0
	s_mov_b32 s4, 0x4755a5e
	v_add_co_u32 v16, s0, 0x800, v8
	global_load_dwordx4 v[4:7], v[8:9], off offset:1040
	v_add_co_ci_u32_e64 v17, s0, 0, v9, s0
	v_add_co_u32 v8, s0, 0x1000, v8
	s_clause 0x1
	global_load_dwordx4 v[12:15], v[16:17], off offset:32
	global_load_dwordx4 v[16:19], v[16:17], off offset:1072
	v_add_co_ci_u32_e64 v9, s0, 0, v9, s0
	ds_write_b128 v143, v[0:3]
	ds_read_b128 v[0:3], v143 offset:1040
	ds_read_b128 v[20:23], v11 offset:9360
	s_mov_b32 s5, 0x3fe2cf23
	global_load_dwordx4 v[24:27], v[8:9], off offset:64
	s_mov_b32 s7, 0xbfe2cf23
	s_mov_b32 s6, s4
	;; [unrolled: 1-line block ×6, first 2 shown]
	v_and_b32_e32 v51, 0xff, v52
	v_mul_lo_u16 v51, 0xcd, v51
	s_waitcnt lgkmcnt(0)
	v_add_f64 v[8:9], v[0:1], v[20:21]
	v_add_f64 v[28:29], v[22:23], v[2:3]
	v_add_f64 v[20:21], v[0:1], -v[20:21]
	v_add_f64 v[0:1], v[2:3], -v[22:23]
	s_waitcnt vmcnt(3)
	v_fma_f64 v[2:3], v[20:21], v[6:7], v[8:9]
	v_fma_f64 v[22:23], v[28:29], v[6:7], v[0:1]
	v_fma_f64 v[8:9], -v[20:21], v[6:7], v[8:9]
	v_fma_f64 v[30:31], v[28:29], v[6:7], -v[0:1]
	v_fma_f64 v[0:1], -v[28:29], v[4:5], v[2:3]
	v_fma_f64 v[2:3], v[20:21], v[4:5], v[22:23]
	v_fma_f64 v[6:7], v[28:29], v[4:5], v[8:9]
	v_fma_f64 v[8:9], v[20:21], v[4:5], v[30:31]
	ds_write_b128 v143, v[0:3] offset:1040
	ds_write_b128 v11, v[6:9] offset:9360
	ds_read_b128 v[0:3], v143 offset:2080
	ds_read_b128 v[4:7], v11 offset:8320
	s_waitcnt lgkmcnt(0)
	v_add_f64 v[8:9], v[0:1], v[4:5]
	v_add_f64 v[20:21], v[6:7], v[2:3]
	v_add_f64 v[22:23], v[0:1], -v[4:5]
	v_add_f64 v[0:1], v[2:3], -v[6:7]
	s_waitcnt vmcnt(2)
	v_fma_f64 v[2:3], v[22:23], v[14:15], v[8:9]
	v_fma_f64 v[4:5], v[20:21], v[14:15], v[0:1]
	v_fma_f64 v[6:7], -v[22:23], v[14:15], v[8:9]
	v_fma_f64 v[8:9], v[20:21], v[14:15], -v[0:1]
	v_fma_f64 v[0:1], -v[20:21], v[12:13], v[2:3]
	v_fma_f64 v[2:3], v[22:23], v[12:13], v[4:5]
	v_fma_f64 v[4:5], v[20:21], v[12:13], v[6:7]
	v_fma_f64 v[6:7], v[22:23], v[12:13], v[8:9]
	ds_write_b128 v143, v[0:3] offset:2080
	ds_write_b128 v11, v[4:7] offset:8320
	ds_read_b128 v[0:3], v143 offset:3120
	ds_read_b128 v[4:7], v11 offset:7280
	;; [unrolled: 18-line block ×3, first 2 shown]
	s_waitcnt lgkmcnt(0)
	v_add_f64 v[8:9], v[0:1], v[4:5]
	v_add_f64 v[12:13], v[6:7], v[2:3]
	v_add_f64 v[14:15], v[0:1], -v[4:5]
	v_add_f64 v[0:1], v[2:3], -v[6:7]
	s_waitcnt vmcnt(0)
	v_fma_f64 v[2:3], v[14:15], v[26:27], v[8:9]
	v_fma_f64 v[4:5], v[12:13], v[26:27], v[0:1]
	v_fma_f64 v[6:7], -v[14:15], v[26:27], v[8:9]
	v_fma_f64 v[8:9], v[12:13], v[26:27], -v[0:1]
	v_fma_f64 v[0:1], -v[12:13], v[24:25], v[2:3]
	v_fma_f64 v[2:3], v[14:15], v[24:25], v[4:5]
	v_fma_f64 v[4:5], v[12:13], v[24:25], v[6:7]
	;; [unrolled: 1-line block ×3, first 2 shown]
	ds_write_b128 v143, v[0:3] offset:4160
	ds_write_b128 v11, v[4:7] offset:6240
	s_waitcnt lgkmcnt(0)
	s_barrier
	buffer_gl0_inv
	s_barrier
	buffer_gl0_inv
	ds_read_b128 v[24:27], v53 offset:3120
	ds_read_b128 v[16:19], v53 offset:5200
	ds_read_b128 v[8:11], v53 offset:7280
	ds_read_b128 v[0:3], v53 offset:9360
	ds_read_b128 v[20:23], v53 offset:4160
	ds_read_b128 v[12:15], v53 offset:6240
	ds_read_b128 v[4:7], v53 offset:8320
	ds_read_b128 v[33:36], v53 offset:2080
	ds_read_b128 v[28:31], v143
	ds_read_b128 v[37:40], v53 offset:1040
	s_waitcnt lgkmcnt(0)
	s_barrier
	buffer_gl0_inv
	v_add_f64 v[84:85], v[24:25], -v[16:17]
	v_add_f64 v[41:42], v[16:17], v[8:9]
	v_add_f64 v[43:44], v[24:25], v[0:1]
	;; [unrolled: 1-line block ×4, first 2 shown]
	v_add_f64 v[64:65], v[26:27], -v[2:3]
	v_add_f64 v[60:61], v[18:19], -v[10:11]
	;; [unrolled: 1-line block ×4, first 2 shown]
	v_add_f64 v[49:50], v[20:21], v[12:13]
	v_add_f64 v[56:57], v[33:34], v[4:5]
	;; [unrolled: 1-line block ×3, first 2 shown]
	v_add_f64 v[86:87], v[16:17], -v[24:25]
	v_add_f64 v[88:89], v[18:19], -v[26:27]
	;; [unrolled: 1-line block ×5, first 2 shown]
	v_add_f64 v[66:67], v[35:36], v[6:7]
	v_add_f64 v[106:107], v[26:27], -v[18:19]
	v_add_f64 v[108:109], v[2:3], -v[10:11]
	v_add_f64 v[68:69], v[28:29], v[33:34]
	v_add_f64 v[70:71], v[30:31], v[35:36]
	;; [unrolled: 1-line block ×3, first 2 shown]
	v_fma_f64 v[41:42], v[41:42], -0.5, v[37:38]
	v_fma_f64 v[43:44], v[43:44], -0.5, v[37:38]
	;; [unrolled: 1-line block ×4, first 2 shown]
	v_add_f64 v[26:27], v[39:40], v[26:27]
	v_add_f64 v[72:73], v[35:36], -v[6:7]
	v_add_f64 v[74:75], v[33:34], -v[20:21]
	;; [unrolled: 1-line block ×5, first 2 shown]
	v_fma_f64 v[49:50], v[49:50], -0.5, v[28:29]
	v_fma_f64 v[28:29], v[56:57], -0.5, v[28:29]
	;; [unrolled: 1-line block ×3, first 2 shown]
	v_add_f64 v[58:59], v[84:85], v[90:91]
	v_add_f64 v[84:85], v[86:87], v[92:93]
	;; [unrolled: 1-line block ×3, first 2 shown]
	v_add_f64 v[96:97], v[20:21], -v[12:13]
	v_add_f64 v[104:105], v[4:5], -v[12:13]
	;; [unrolled: 1-line block ×3, first 2 shown]
	v_fma_f64 v[30:31], v[66:67], -0.5, v[30:31]
	v_add_f64 v[66:67], v[106:107], v[108:109]
	v_add_f64 v[80:81], v[35:36], -v[22:23]
	v_fma_f64 v[98:99], v[64:65], s[10:11], v[41:42]
	v_fma_f64 v[102:103], v[60:61], s[10:11], v[43:44]
	;; [unrolled: 1-line block ×8, first 2 shown]
	v_add_f64 v[35:36], v[22:23], -v[35:36]
	v_add_f64 v[20:21], v[68:69], v[20:21]
	v_add_f64 v[22:23], v[70:71], v[22:23]
	;; [unrolled: 1-line block ×4, first 2 shown]
	v_add_f64 v[37:38], v[6:7], -v[14:15]
	v_fma_f64 v[68:69], v[82:83], s[12:13], v[28:29]
	v_fma_f64 v[28:29], v[82:83], s[10:11], v[28:29]
	;; [unrolled: 1-line block ×3, first 2 shown]
	v_add_f64 v[39:40], v[14:15], -v[6:7]
	v_add_f64 v[24:25], v[74:75], v[104:105]
	v_add_f64 v[26:27], v[78:79], v[112:113]
	v_fma_f64 v[56:57], v[33:34], s[10:11], v[56:57]
	v_fma_f64 v[78:79], v[96:97], s[10:11], v[30:31]
	;; [unrolled: 1-line block ×13, first 2 shown]
	v_add_f64 v[12:13], v[20:21], v[12:13]
	v_add_f64 v[14:15], v[22:23], v[14:15]
	;; [unrolled: 1-line block ×5, first 2 shown]
	v_fma_f64 v[20:21], v[72:73], s[4:5], v[68:69]
	v_fma_f64 v[22:23], v[72:73], s[6:7], v[28:29]
	;; [unrolled: 1-line block ×3, first 2 shown]
	v_add_f64 v[35:36], v[35:36], v[39:40]
	v_fma_f64 v[39:40], v[96:97], s[4:5], v[56:57]
	v_mov_b32_e32 v111, 4
	v_fma_f64 v[62:63], v[58:59], s[0:1], v[88:89]
	v_fma_f64 v[76:77], v[84:85], s[0:1], v[92:93]
	;; [unrolled: 1-line block ×12, first 2 shown]
	v_add_f64 v[4:5], v[12:13], v[4:5]
	v_add_f64 v[6:7], v[14:15], v[6:7]
	;; [unrolled: 1-line block ×4, first 2 shown]
	v_fma_f64 v[78:79], v[26:27], s[0:1], v[20:21]
	v_fma_f64 v[80:81], v[26:27], s[0:1], v[22:23]
	v_add_nc_u16 v84, v52, 0x41
	v_fma_f64 v[82:83], v[37:38], s[0:1], v[39:40]
	v_mul_f64 v[49:50], v[62:63], s[14:15]
	v_mul_f64 v[62:63], v[62:63], s[6:7]
	;; [unrolled: 1-line block ×8, first 2 shown]
	v_fma_f64 v[15:16], v[24:25], s[0:1], v[16:17]
	v_fma_f64 v[72:73], v[24:25], s[0:1], v[18:19]
	;; [unrolled: 1-line block ×4, first 2 shown]
	v_and_b32_e32 v0, 0xff, v84
	v_lshrrev_b16 v31, 11, v51
	v_add_f64 v[2:3], v[6:7], v[10:11]
	v_add_f64 v[6:7], v[6:7], -v[10:11]
	v_mul_lo_u16 v51, 0xcd, v0
	v_add_f64 v[0:1], v[4:5], v[8:9]
	v_add_f64 v[4:5], v[4:5], -v[8:9]
	v_fma_f64 v[21:22], v[47:48], s[4:5], v[49:50]
	v_fma_f64 v[23:24], v[47:48], s[14:15], v[62:63]
	;; [unrolled: 1-line block ×3, first 2 shown]
	v_fma_f64 v[39:40], v[45:46], s[10:11], -v[60:61]
	v_fma_f64 v[43:44], v[35:36], s[0:1], v[64:65]
	v_fma_f64 v[45:46], v[74:75], s[0:1], v[66:67]
	v_fma_f64 v[47:48], v[76:77], s[12:13], -v[68:69]
	v_fma_f64 v[35:36], v[58:59], s[4:5], -v[33:34]
	;; [unrolled: 1-line block ×3, first 2 shown]
	v_lshrrev_b16 v51, 11, v51
	v_mul_lo_u16 v56, v31, 10
	v_and_b32_e32 v31, 0xffff, v31
	v_sub_nc_u16 v8, v52, v56
	v_add_f64 v[9:10], v[15:16], v[21:22]
	v_add_f64 v[11:12], v[19:20], v[23:24]
	;; [unrolled: 1-line block ×3, first 2 shown]
	v_add_f64 v[21:22], v[15:16], -v[21:22]
	v_add_f64 v[17:18], v[80:81], v[39:40]
	v_add_f64 v[15:16], v[43:44], v[45:46]
	v_add_f64 v[23:24], v[19:20], -v[23:24]
	v_add_f64 v[19:20], v[29:30], v[47:48]
	v_add_f64 v[25:26], v[72:73], v[35:36]
	;; [unrolled: 1-line block ×3, first 2 shown]
	v_add_f64 v[33:34], v[78:79], -v[37:38]
	v_add_f64 v[41:42], v[72:73], -v[35:36]
	;; [unrolled: 1-line block ×3, first 2 shown]
	v_mul_lo_u16 v45, v51, 10
	v_add_f64 v[37:38], v[80:81], -v[39:40]
	v_add_f64 v[39:40], v[29:30], -v[47:48]
	;; [unrolled: 1-line block ×3, first 2 shown]
	v_mov_b32_e32 v29, 6
	v_sub_nc_u16 v110, v84, v45
	v_mad_u32_u24 v30, 0x90, v52, v53
	ds_write_b128 v30, v[0:3]
	ds_write_b128 v30, v[4:7] offset:80
	ds_write_b128 v30, v[9:12] offset:16
	;; [unrolled: 1-line block ×9, first 2 shown]
	v_lshlrev_b32_sdwa v46, v29, v8 dst_sel:DWORD dst_unused:UNUSED_PAD src0_sel:DWORD src1_sel:BYTE_0
	v_lshlrev_b32_sdwa v29, v29, v110 dst_sel:DWORD dst_unused:UNUSED_PAD src0_sel:DWORD src1_sel:BYTE_0
	s_waitcnt lgkmcnt(0)
	s_barrier
	buffer_gl0_inv
	s_clause 0x7
	global_load_dwordx4 v[0:3], v46, s[8:9]
	global_load_dwordx4 v[4:7], v46, s[8:9] offset:16
	global_load_dwordx4 v[9:12], v46, s[8:9] offset:32
	;; [unrolled: 1-line block ×3, first 2 shown]
	global_load_dwordx4 v[17:20], v29, s[8:9]
	global_load_dwordx4 v[21:24], v29, s[8:9] offset:16
	global_load_dwordx4 v[25:28], v29, s[8:9] offset:32
	;; [unrolled: 1-line block ×3, first 2 shown]
	ds_read_b128 v[37:40], v53 offset:2080
	ds_read_b128 v[41:44], v53 offset:4160
	;; [unrolled: 1-line block ×8, first 2 shown]
	v_lshlrev_b32_sdwa v8, v111, v8 dst_sel:DWORD dst_unused:UNUSED_PAD src0_sel:DWORD src1_sel:BYTE_0
	s_waitcnt vmcnt(3) lgkmcnt(3)
	v_mul_f64 v[80:81], v[62:63], v[19:20]
	v_mul_f64 v[29:30], v[39:40], v[2:3]
	v_mul_f64 v[2:3], v[37:38], v[2:3]
	v_mul_f64 v[49:50], v[43:44], v[6:7]
	v_mul_f64 v[6:7], v[41:42], v[6:7]
	v_mul_f64 v[76:77], v[47:48], v[11:12]
	v_mul_f64 v[78:79], v[58:59], v[15:16]
	v_mul_f64 v[11:12], v[45:46], v[11:12]
	v_mul_f64 v[15:16], v[56:57], v[15:16]
	v_mul_f64 v[19:20], v[60:61], v[19:20]
	s_waitcnt vmcnt(2) lgkmcnt(2)
	v_mul_f64 v[82:83], v[66:67], v[23:24]
	v_mul_f64 v[23:24], v[64:65], v[23:24]
	s_waitcnt vmcnt(1) lgkmcnt(1)
	v_mul_f64 v[84:85], v[70:71], v[27:28]
	v_mul_f64 v[27:28], v[68:69], v[27:28]
	;; [unrolled: 3-line block ×3, first 2 shown]
	v_fma_f64 v[29:30], v[37:38], v[0:1], -v[29:30]
	v_fma_f64 v[37:38], v[39:40], v[0:1], v[2:3]
	v_fma_f64 v[39:40], v[41:42], v[4:5], -v[49:50]
	v_fma_f64 v[41:42], v[43:44], v[4:5], v[6:7]
	v_fma_f64 v[43:44], v[45:46], v[9:10], -v[76:77]
	v_fma_f64 v[45:46], v[56:57], v[13:14], -v[78:79]
	v_fma_f64 v[9:10], v[47:48], v[9:10], v[11:12]
	v_fma_f64 v[11:12], v[58:59], v[13:14], v[15:16]
	v_fma_f64 v[13:14], v[60:61], v[17:18], -v[80:81]
	v_fma_f64 v[15:16], v[62:63], v[17:18], v[19:20]
	v_fma_f64 v[17:18], v[64:65], v[21:22], -v[82:83]
	;; [unrolled: 2-line block ×3, first 2 shown]
	v_fma_f64 v[23:24], v[72:73], v[33:34], -v[86:87]
	v_fma_f64 v[25:26], v[70:71], v[25:26], v[27:28]
	v_fma_f64 v[27:28], v[74:75], v[33:34], v[35:36]
	ds_read_b128 v[0:3], v143
	ds_read_b128 v[4:7], v53 offset:1040
	s_waitcnt lgkmcnt(0)
	s_barrier
	buffer_gl0_inv
	v_add_f64 v[70:71], v[29:30], -v[39:40]
	v_add_f64 v[62:63], v[37:38], -v[41:42]
	v_add_f64 v[33:34], v[39:40], v[43:44]
	v_add_f64 v[35:36], v[29:30], v[45:46]
	;; [unrolled: 1-line block ×4, first 2 shown]
	v_add_f64 v[60:61], v[37:38], -v[11:12]
	v_add_f64 v[64:65], v[41:42], -v[9:10]
	;; [unrolled: 1-line block ×4, first 2 shown]
	v_add_f64 v[80:81], v[17:18], v[21:22]
	v_add_f64 v[82:83], v[13:14], v[23:24]
	;; [unrolled: 1-line block ×6, first 2 shown]
	v_add_f64 v[37:38], v[41:42], -v[37:38]
	v_add_f64 v[72:73], v[39:40], -v[29:30]
	;; [unrolled: 1-line block ×6, first 2 shown]
	v_add_f64 v[88:89], v[6:7], v[15:16]
	v_add_f64 v[90:91], v[4:5], v[13:14]
	v_add_f64 v[92:93], v[15:16], -v[27:28]
	v_add_f64 v[96:97], v[19:20], -v[25:26]
	;; [unrolled: 1-line block ×4, first 2 shown]
	v_fma_f64 v[33:34], v[33:34], -0.5, v[0:1]
	v_fma_f64 v[47:48], v[47:48], -0.5, v[2:3]
	;; [unrolled: 1-line block ×4, first 2 shown]
	v_add_f64 v[13:14], v[13:14], -v[23:24]
	v_add_f64 v[35:36], v[17:18], -v[21:22]
	v_fma_f64 v[49:50], v[80:81], -0.5, v[4:5]
	v_add_f64 v[41:42], v[56:57], v[41:42]
	v_fma_f64 v[56:57], v[84:85], -0.5, v[6:7]
	v_fma_f64 v[4:5], v[82:83], -0.5, v[4:5]
	;; [unrolled: 1-line block ×3, first 2 shown]
	v_add_f64 v[94:95], v[15:16], -v[19:20]
	v_add_f64 v[15:16], v[19:20], -v[15:16]
	;; [unrolled: 1-line block ×6, first 2 shown]
	v_add_f64 v[39:40], v[58:59], v[39:40]
	v_add_f64 v[58:59], v[70:71], v[74:75]
	;; [unrolled: 1-line block ×7, first 2 shown]
	v_fma_f64 v[37:38], v[60:61], s[10:11], v[33:34]
	v_fma_f64 v[74:75], v[29:30], s[12:13], v[47:48]
	;; [unrolled: 1-line block ×16, first 2 shown]
	v_add_f64 v[68:69], v[98:99], v[102:103]
	v_add_f64 v[72:73], v[100:101], v[104:105]
	v_add_f64 v[90:91], v[94:95], v[106:107]
	v_add_f64 v[94:95], v[15:16], v[108:109]
	v_add_f64 v[9:10], v[41:42], v[9:10]
	v_add_f64 v[15:16], v[39:40], v[43:44]
	v_add_f64 v[19:20], v[19:20], v[25:26]
	v_add_f64 v[17:18], v[17:18], v[21:22]
	v_fma_f64 v[21:22], v[64:65], s[4:5], v[37:38]
	v_fma_f64 v[25:26], v[78:79], s[6:7], v[74:75]
	;; [unrolled: 1-line block ×16, first 2 shown]
	v_and_b32_e32 v35, 0xffff, v51
	v_add_f64 v[2:3], v[9:10], v[11:12]
	v_add_f64 v[0:1], v[15:16], v[45:46]
	;; [unrolled: 1-line block ×4, first 2 shown]
	v_fma_f64 v[16:17], v[58:59], s[0:1], v[21:22]
	v_fma_f64 v[18:19], v[62:63], s[0:1], v[25:26]
	v_fma_f64 v[24:25], v[58:59], s[0:1], v[33:34]
	v_fma_f64 v[26:27], v[62:63], s[0:1], v[40:41]
	v_fma_f64 v[4:5], v[70:71], s[0:1], v[42:43]
	v_fma_f64 v[6:7], v[66:67], s[0:1], v[47:48]
	v_fma_f64 v[12:13], v[70:71], s[0:1], v[60:61]
	v_fma_f64 v[14:15], v[66:67], s[0:1], v[29:30]
	v_fma_f64 v[44:45], v[68:69], s[0:1], v[64:65]
	v_fma_f64 v[20:21], v[68:69], s[0:1], v[49:50]
	v_fma_f64 v[46:47], v[90:91], s[0:1], v[74:75]
	v_fma_f64 v[48:49], v[72:73], s[0:1], v[76:77]
	v_fma_f64 v[40:41], v[72:73], s[0:1], v[78:79]
	v_fma_f64 v[50:51], v[94:95], s[0:1], v[80:81]
	v_fma_f64 v[42:43], v[94:95], s[0:1], v[82:83]
	v_fma_f64 v[22:23], v[90:91], s[0:1], v[56:57]
	v_mad_u32_u24 v9, 0x320, v31, 0
	v_mad_u32_u24 v10, 0x320, v35, 0
	v_lshlrev_b32_sdwa v11, v111, v110 dst_sel:DWORD dst_unused:UNUSED_PAD src0_sel:DWORD src1_sel:BYTE_0
	v_cmp_gt_u32_e64 s0, 50, v52
                                        ; implicit-def: $vgpr34_vgpr35
                                        ; implicit-def: $vgpr30_vgpr31
	v_add3_u32 v8, v9, v8, v32
	v_add3_u32 v9, v10, v11, v32
	ds_write_b128 v8, v[0:3]
	ds_write_b128 v8, v[16:19] offset:160
	ds_write_b128 v8, v[4:7] offset:320
	;; [unrolled: 1-line block ×4, first 2 shown]
	ds_write_b128 v9, v[36:39]
	ds_write_b128 v9, v[44:47] offset:160
	ds_write_b128 v9, v[48:51] offset:320
	;; [unrolled: 1-line block ×4, first 2 shown]
	s_waitcnt lgkmcnt(0)
	s_barrier
	buffer_gl0_inv
                                        ; implicit-def: $vgpr10_vgpr11
	s_and_saveexec_b32 s1, s0
	s_cbranch_execz .LBB0_18
; %bb.17:
	ds_read_b128 v[0:3], v143
	ds_read_b128 v[16:19], v53 offset:800
	ds_read_b128 v[4:7], v53 offset:1600
	;; [unrolled: 1-line block ×12, first 2 shown]
.LBB0_18:
	s_or_b32 exec_lo, exec_lo, s1
	s_waitcnt lgkmcnt(0)
	s_barrier
	buffer_gl0_inv
	s_and_saveexec_b32 s33, s0
	s_cbranch_execz .LBB0_20
; %bb.19:
	v_subrev_nc_u32_e32 v56, 50, v52
	v_mov_b32_e32 v57, 0
	s_mov_b32 s16, 0x1ea71119
	s_mov_b32 s4, 0xd0032e0c
	s_mov_b32 s24, 0xe00740e9
	v_cndmask_b32_e64 v56, v56, v52, s0
	s_mov_b32 s6, 0x93053d00
	s_mov_b32 s17, 0x3fe22d96
	s_mov_b32 s5, 0xbfe7f3cc
	s_mov_b32 s25, 0x3fec55a7
	v_mul_i32_i24_e32 v56, 12, v56
	s_mov_b32 s7, 0xbfef11f4
	s_mov_b32 s22, 0x66966769
	;; [unrolled: 1-line block ×4, first 2 shown]
	v_lshlrev_b64 v[56:57], 4, v[56:57]
	s_mov_b32 s12, 0x24c2f84
	s_mov_b32 s26, 0x4267c47c
	;; [unrolled: 1-line block ×5, first 2 shown]
	v_add_co_u32 v76, s0, s8, v56
	v_add_co_ci_u32_e64 v77, s0, s9, v57, s0
	s_mov_b32 s8, 0xebaa3ed8
	s_mov_b32 s0, 0xb2365da1
	;; [unrolled: 1-line block ×3, first 2 shown]
	s_clause 0x1
	global_load_dwordx4 v[58:61], v[76:77], off offset:720
	global_load_dwordx4 v[62:65], v[76:77], off offset:704
	s_mov_b32 s1, 0xbfd6b1d8
	s_mov_b32 s31, 0xbfea55e2
	;; [unrolled: 1-line block ×17, first 2 shown]
	s_waitcnt vmcnt(1)
	v_mul_f64 v[56:57], v[44:45], v[60:61]
	v_fma_f64 v[56:57], v[46:47], v[58:59], v[56:57]
	v_mul_f64 v[46:47], v[46:47], v[60:61]
	v_fma_f64 v[44:45], v[44:45], v[58:59], -v[46:47]
	s_clause 0x1
	global_load_dwordx4 v[58:61], v[76:77], off offset:736
	global_load_dwordx4 v[66:69], v[76:77], off offset:752
	s_waitcnt vmcnt(1)
	v_mul_f64 v[46:47], v[48:49], v[60:61]
	v_fma_f64 v[46:47], v[50:51], v[58:59], v[46:47]
	v_mul_f64 v[50:51], v[50:51], v[60:61]
	v_add_f64 v[132:133], v[56:57], v[46:47]
	v_fma_f64 v[48:49], v[48:49], v[58:59], -v[50:51]
	v_mul_f64 v[50:51], v[36:37], v[64:65]
	v_add_f64 v[134:135], v[56:57], -v[46:47]
	v_mul_f64 v[160:161], v[132:133], s[8:9]
	v_fma_f64 v[50:51], v[38:39], v[62:63], v[50:51]
	v_mul_f64 v[38:39], v[38:39], v[64:65]
	v_mul_f64 v[162:163], v[134:135], s[18:19]
	v_fma_f64 v[36:37], v[36:37], v[62:63], -v[38:39]
	s_waitcnt vmcnt(0)
	v_mul_f64 v[38:39], v[40:41], v[68:69]
	v_fma_f64 v[38:39], v[42:43], v[66:67], v[38:39]
	v_mul_f64 v[42:43], v[42:43], v[68:69]
	s_clause 0x1
	global_load_dwordx4 v[58:61], v[76:77], off offset:688
	global_load_dwordx4 v[68:71], v[76:77], off offset:672
	v_add_f64 v[128:129], v[50:51], v[38:39]
	v_fma_f64 v[40:41], v[40:41], v[66:67], -v[42:43]
	v_add_f64 v[130:131], v[50:51], -v[38:39]
	v_mul_f64 v[154:155], v[128:129], s[0:1]
	v_mul_f64 v[156:157], v[130:131], s[34:35]
	s_waitcnt vmcnt(1)
	v_mul_f64 v[42:43], v[24:25], v[60:61]
	v_fma_f64 v[42:43], v[26:27], v[58:59], v[42:43]
	v_mul_f64 v[26:27], v[26:27], v[60:61]
	v_fma_f64 v[58:59], v[24:25], v[58:59], -v[26:27]
	s_clause 0x1
	global_load_dwordx4 v[60:63], v[76:77], off offset:640
	global_load_dwordx4 v[24:27], v[76:77], off offset:656
	s_waitcnt vmcnt(1)
	v_mul_f64 v[64:65], v[16:17], v[62:63]
	v_fma_f64 v[64:65], v[18:19], v[60:61], v[64:65]
	v_mul_f64 v[18:19], v[18:19], v[62:63]
	v_fma_f64 v[66:67], v[16:17], v[60:61], -v[18:19]
	s_clause 0x1
	global_load_dwordx4 v[60:63], v[76:77], off offset:816
	global_load_dwordx4 v[72:75], v[76:77], off offset:800
	s_waitcnt vmcnt(1)
	v_mul_f64 v[16:17], v[32:33], v[62:63]
	v_mul_f64 v[18:19], v[34:35], v[62:63]
	v_fma_f64 v[16:17], v[34:35], v[60:61], v[16:17]
	v_fma_f64 v[18:19], v[32:33], v[60:61], -v[18:19]
	s_clause 0x1
	global_load_dwordx4 v[60:63], v[76:77], off offset:768
	global_load_dwordx4 v[76:79], v[76:77], off offset:784
	v_add_f64 v[88:89], v[66:67], v[18:19]
	s_waitcnt vmcnt(1)
	v_mul_f64 v[32:33], v[20:21], v[62:63]
	v_fma_f64 v[32:33], v[22:23], v[60:61], v[32:33]
	v_mul_f64 v[22:23], v[22:23], v[62:63]
	v_add_f64 v[124:125], v[42:43], v[32:33]
	v_fma_f64 v[20:21], v[20:21], v[60:61], -v[22:23]
	v_mul_f64 v[22:23], v[12:13], v[70:71]
	v_add_f64 v[126:127], v[42:43], -v[32:33]
	v_fma_f64 v[22:23], v[14:15], v[68:69], v[22:23]
	v_mul_f64 v[14:15], v[14:15], v[70:71]
	v_mul_f64 v[152:153], v[126:127], s[20:21]
	v_fma_f64 v[34:35], v[12:13], v[68:69], -v[14:15]
	s_waitcnt vmcnt(0)
	v_mul_f64 v[12:13], v[28:29], v[78:79]
	v_add_f64 v[68:69], v[66:67], -v[18:19]
	v_fma_f64 v[60:61], v[30:31], v[76:77], v[12:13]
	v_mul_f64 v[12:13], v[30:31], v[78:79]
	v_add_f64 v[120:121], v[22:23], v[60:61]
	v_fma_f64 v[28:29], v[28:29], v[76:77], -v[12:13]
	v_mul_f64 v[12:13], v[4:5], v[26:27]
	v_add_f64 v[122:123], v[22:23], -v[60:61]
	v_fma_f64 v[30:31], v[6:7], v[24:25], v[12:13]
	v_mul_f64 v[6:7], v[6:7], v[26:27]
	v_fma_f64 v[62:63], v[4:5], v[24:25], -v[6:7]
	v_mul_f64 v[4:5], v[8:9], v[74:75]
	v_fma_f64 v[24:25], v[10:11], v[72:73], v[4:5]
	v_mul_f64 v[4:5], v[10:11], v[74:75]
	v_fma_f64 v[26:27], v[8:9], v[72:73], -v[4:5]
	v_add_f64 v[4:5], v[64:65], v[16:17]
	v_mul_f64 v[6:7], v[4:5], s[6:7]
	v_mul_f64 v[8:9], v[4:5], s[4:5]
	;; [unrolled: 1-line block ×6, first 2 shown]
	v_fma_f64 v[72:73], v[68:69], s[14:15], v[6:7]
	v_fma_f64 v[6:7], v[68:69], s[36:37], v[6:7]
	v_fma_f64 v[74:75], v[68:69], s[12:13], v[8:9]
	v_fma_f64 v[8:9], v[68:69], s[28:29], v[8:9]
	v_fma_f64 v[76:77], v[68:69], s[10:11], v[10:11]
	v_fma_f64 v[10:11], v[68:69], s[34:35], v[10:11]
	v_fma_f64 v[78:79], v[68:69], s[18:19], v[12:13]
	v_fma_f64 v[12:13], v[68:69], s[22:23], v[12:13]
	v_fma_f64 v[92:93], v[68:69], s[20:21], v[14:15]
	v_fma_f64 v[14:15], v[68:69], s[30:31], v[14:15]
	v_fma_f64 v[94:95], v[68:69], s[38:39], v[4:5]
	v_fma_f64 v[4:5], v[68:69], s[26:27], v[4:5]
	v_add_f64 v[68:69], v[64:65], -v[16:17]
	v_add_f64 v[116:117], v[2:3], v[72:73]
	v_add_f64 v[72:73], v[62:63], -v[26:27]
	v_add_f64 v[144:145], v[2:3], v[74:75]
	v_add_f64 v[148:149], v[2:3], v[8:9]
	;; [unrolled: 1-line block ×6, first 2 shown]
	v_mul_f64 v[82:83], v[68:69], s[34:35]
	v_mul_f64 v[70:71], v[68:69], s[36:37]
	;; [unrolled: 1-line block ×6, first 2 shown]
	v_fma_f64 v[100:101], v[88:89], s[0:1], v[82:83]
	v_fma_f64 v[82:83], v[88:89], s[0:1], -v[82:83]
	v_fma_f64 v[90:91], v[88:89], s[6:7], v[70:71]
	v_fma_f64 v[96:97], v[88:89], s[6:7], -v[70:71]
	;; [unrolled: 2-line block ×6, first 2 shown]
	v_add_f64 v[68:69], v[2:3], v[64:65]
	v_add_f64 v[70:71], v[0:1], v[66:67]
	;; [unrolled: 1-line block ×4, first 2 shown]
	v_add_f64 v[94:95], v[30:31], -v[24:25]
	v_add_f64 v[84:85], v[0:1], v[100:101]
	v_add_f64 v[88:89], v[0:1], v[82:83]
	;; [unrolled: 1-line block ×16, first 2 shown]
	v_add_f64 v[100:101], v[34:35], -v[28:29]
	v_mul_f64 v[10:11], v[120:121], s[4:5]
	v_add_f64 v[98:99], v[2:3], v[12:13]
	v_mul_f64 v[8:9], v[94:95], s[38:39]
	v_add_f64 v[102:103], v[34:35], v[28:29]
	v_add_f64 v[104:105], v[58:59], -v[20:21]
	v_add_f64 v[30:31], v[68:69], v[30:31]
	v_add_f64 v[62:63], v[70:71], v[62:63]
	v_mul_f64 v[4:5], v[92:93], s[24:25]
	v_fma_f64 v[12:13], v[100:101], s[12:13], v[10:11]
	v_fma_f64 v[2:3], v[74:75], s[24:25], v[8:9]
	v_add_f64 v[22:23], v[30:31], v[22:23]
	v_add_f64 v[30:31], v[62:63], v[34:35]
	v_fma_f64 v[0:1], v[72:73], s[26:27], v[4:5]
	v_fma_f64 v[4:5], v[72:73], s[38:39], v[4:5]
	v_add_f64 v[2:3], v[2:3], v[118:119]
	v_add_f64 v[118:119], v[44:45], v[48:49]
	;; [unrolled: 1-line block ×6, first 2 shown]
	v_fma_f64 v[6:7], v[74:75], s[24:25], -v[8:9]
	v_fma_f64 v[8:9], v[100:101], s[28:29], v[10:11]
	v_fma_f64 v[10:11], v[118:119], s[8:9], -v[162:163]
	v_add_f64 v[22:23], v[22:23], v[50:51]
	v_add_f64 v[30:31], v[30:31], v[36:37]
	;; [unrolled: 1-line block ×3, first 2 shown]
	v_mul_f64 v[12:13], v[122:123], s[28:29]
	v_add_f64 v[6:7], v[6:7], v[140:141]
	v_add_f64 v[4:5], v[8:9], v[4:5]
	v_mul_f64 v[140:141], v[120:121], s[16:17]
	v_add_f64 v[22:23], v[22:23], v[56:57]
	v_add_f64 v[30:31], v[30:31], v[44:45]
	v_fma_f64 v[14:15], v[102:103], s[4:5], v[12:13]
	v_fma_f64 v[8:9], v[102:103], s[4:5], -v[12:13]
	v_mul_f64 v[12:13], v[92:93], s[8:9]
	v_add_f64 v[22:23], v[22:23], v[46:47]
	v_add_f64 v[30:31], v[30:31], v[48:49]
	;; [unrolled: 1-line block ×3, first 2 shown]
	v_mul_f64 v[14:15], v[124:125], s[16:17]
	v_add_f64 v[6:7], v[8:9], v[6:7]
	v_add_f64 v[22:23], v[22:23], v[38:39]
	;; [unrolled: 1-line block ×3, first 2 shown]
	v_fma_f64 v[106:107], v[104:105], s[30:31], v[14:15]
	v_fma_f64 v[8:9], v[104:105], s[20:21], v[14:15]
	v_mul_f64 v[14:15], v[94:95], s[18:19]
	v_add_f64 v[22:23], v[22:23], v[32:33]
	v_add_f64 v[0:1], v[106:107], v[0:1]
	;; [unrolled: 1-line block ×6, first 2 shown]
	v_fma_f64 v[112:113], v[106:107], s[16:17], v[152:153]
	v_fma_f64 v[8:9], v[106:107], s[16:17], -v[152:153]
	v_add_f64 v[20:21], v[20:21], v[28:29]
	v_add_f64 v[22:23], v[22:23], v[24:25]
	v_add_f64 v[2:3], v[112:113], v[2:3]
	v_add_f64 v[112:113], v[36:37], -v[40:41]
	v_add_f64 v[6:7], v[8:9], v[6:7]
	v_add_f64 v[24:25], v[20:21], v[26:27]
	;; [unrolled: 1-line block ×3, first 2 shown]
	v_fma_f64 v[114:115], v[112:113], s[10:11], v[154:155]
	v_fma_f64 v[8:9], v[112:113], s[34:35], v[154:155]
	v_add_f64 v[18:19], v[24:25], v[18:19]
	v_add_f64 v[0:1], v[114:115], v[0:1]
	;; [unrolled: 1-line block ×4, first 2 shown]
	v_fma_f64 v[116:117], v[114:115], s[0:1], v[156:157]
	v_fma_f64 v[8:9], v[114:115], s[0:1], -v[156:157]
	v_add_f64 v[158:159], v[116:117], v[2:3]
	v_add_f64 v[116:117], v[44:45], -v[48:49]
	v_add_f64 v[8:9], v[8:9], v[6:7]
	v_fma_f64 v[6:7], v[116:117], s[18:19], v[160:161]
	v_fma_f64 v[2:3], v[116:117], s[22:23], v[160:161]
	v_mul_f64 v[160:161], v[132:133], s[0:1]
	v_add_f64 v[6:7], v[6:7], v[4:5]
	v_add_f64 v[4:5], v[10:11], v[8:9]
	v_fma_f64 v[8:9], v[72:73], s[22:23], v[12:13]
	v_fma_f64 v[10:11], v[74:75], s[8:9], v[14:15]
	;; [unrolled: 1-line block ×3, first 2 shown]
	v_fma_f64 v[14:15], v[74:75], s[8:9], -v[14:15]
	v_add_f64 v[2:3], v[2:3], v[0:1]
	v_fma_f64 v[0:1], v[118:119], s[8:9], v[162:163]
	v_mul_f64 v[162:163], v[134:135], s[34:35]
	v_add_f64 v[8:9], v[8:9], v[144:145]
	v_fma_f64 v[144:145], v[100:101], s[20:21], v[140:141]
	v_add_f64 v[10:11], v[10:11], v[146:147]
	v_add_f64 v[12:13], v[12:13], v[148:149]
	v_fma_f64 v[140:141], v[100:101], s[30:31], v[140:141]
	v_add_f64 v[14:15], v[14:15], v[150:151]
	v_add_f64 v[0:1], v[0:1], v[158:159]
	;; [unrolled: 1-line block ×3, first 2 shown]
	v_mul_f64 v[144:145], v[122:123], s[30:31]
	v_add_f64 v[12:13], v[140:141], v[12:13]
	v_fma_f64 v[146:147], v[102:103], s[16:17], v[144:145]
	v_fma_f64 v[140:141], v[102:103], s[16:17], -v[144:145]
	v_fma_f64 v[144:145], v[118:119], s[0:1], -v[162:163]
	v_add_f64 v[10:11], v[146:147], v[10:11]
	v_mul_f64 v[146:147], v[124:125], s[6:7]
	v_add_f64 v[14:15], v[140:141], v[14:15]
	v_fma_f64 v[152:153], v[104:105], s[36:37], v[146:147]
	v_fma_f64 v[140:141], v[104:105], s[14:15], v[146:147]
	v_add_f64 v[8:9], v[152:153], v[8:9]
	v_mul_f64 v[152:153], v[126:127], s[14:15]
	v_add_f64 v[12:13], v[140:141], v[12:13]
	v_fma_f64 v[154:155], v[106:107], s[6:7], v[152:153]
	v_fma_f64 v[140:141], v[106:107], s[6:7], -v[152:153]
	v_add_f64 v[10:11], v[154:155], v[10:11]
	v_mul_f64 v[154:155], v[128:129], s[24:25]
	v_add_f64 v[14:15], v[140:141], v[14:15]
	v_fma_f64 v[156:157], v[112:113], s[26:27], v[154:155]
	v_fma_f64 v[140:141], v[112:113], s[38:39], v[154:155]
	v_add_f64 v[8:9], v[156:157], v[8:9]
	v_mul_f64 v[156:157], v[130:131], s[38:39]
	v_add_f64 v[12:13], v[140:141], v[12:13]
	v_fma_f64 v[140:141], v[114:115], s[24:25], -v[156:157]
	v_fma_f64 v[158:159], v[114:115], s[24:25], v[156:157]
	v_add_f64 v[140:141], v[140:141], v[14:15]
	v_fma_f64 v[14:15], v[116:117], s[34:35], v[160:161]
	v_add_f64 v[158:159], v[158:159], v[10:11]
	;; [unrolled: 2-line block ×3, first 2 shown]
	v_add_f64 v[12:13], v[144:145], v[140:141]
	v_mul_f64 v[140:141], v[92:93], s[16:17]
	v_add_f64 v[10:11], v[10:11], v[8:9]
	v_fma_f64 v[8:9], v[118:119], s[0:1], v[162:163]
	v_fma_f64 v[144:145], v[72:73], s[30:31], v[140:141]
	;; [unrolled: 1-line block ×3, first 2 shown]
	v_add_f64 v[8:9], v[8:9], v[158:159]
	v_add_f64 v[138:139], v[144:145], v[138:139]
	v_mul_f64 v[144:145], v[94:95], s[30:31]
	v_add_f64 v[16:17], v[16:17], v[64:65]
	v_fma_f64 v[146:147], v[74:75], s[16:17], -v[144:145]
	v_fma_f64 v[22:23], v[74:75], s[16:17], v[144:145]
	v_add_f64 v[136:137], v[146:147], v[136:137]
	v_mul_f64 v[146:147], v[120:121], s[8:9]
	v_add_f64 v[22:23], v[22:23], v[66:67]
	v_fma_f64 v[148:149], v[100:101], s[22:23], v[146:147]
	v_fma_f64 v[24:25], v[100:101], s[18:19], v[146:147]
	v_add_f64 v[138:139], v[148:149], v[138:139]
	v_mul_f64 v[148:149], v[122:123], s[22:23]
	v_add_f64 v[16:17], v[24:25], v[16:17]
	v_fma_f64 v[150:151], v[102:103], s[8:9], -v[148:149]
	v_fma_f64 v[26:27], v[102:103], s[8:9], v[148:149]
	v_add_f64 v[136:137], v[150:151], v[136:137]
	v_mul_f64 v[150:151], v[124:125], s[0:1]
	v_add_f64 v[22:23], v[26:27], v[22:23]
	v_fma_f64 v[152:153], v[104:105], s[34:35], v[150:151]
	v_fma_f64 v[28:29], v[104:105], s[10:11], v[150:151]
	v_add_f64 v[138:139], v[152:153], v[138:139]
	v_mul_f64 v[152:153], v[126:127], s[34:35]
	v_add_f64 v[16:17], v[28:29], v[16:17]
	v_fma_f64 v[154:155], v[106:107], s[0:1], -v[152:153]
	v_fma_f64 v[30:31], v[106:107], s[0:1], v[152:153]
	v_add_f64 v[136:137], v[154:155], v[136:137]
	v_mul_f64 v[154:155], v[128:129], s[4:5]
	v_add_f64 v[22:23], v[30:31], v[22:23]
	v_fma_f64 v[156:157], v[112:113], s[28:29], v[154:155]
	v_fma_f64 v[24:25], v[112:113], s[12:13], v[154:155]
	v_add_f64 v[138:139], v[156:157], v[138:139]
	v_mul_f64 v[156:157], v[130:131], s[28:29]
	v_add_f64 v[16:17], v[24:25], v[16:17]
	v_fma_f64 v[158:159], v[114:115], s[4:5], -v[156:157]
	v_fma_f64 v[26:27], v[114:115], s[4:5], v[156:157]
	v_add_f64 v[136:137], v[158:159], v[136:137]
	v_mul_f64 v[158:159], v[132:133], s[6:7]
	v_add_f64 v[22:23], v[26:27], v[22:23]
	v_fma_f64 v[160:161], v[116:117], s[36:37], v[158:159]
	v_fma_f64 v[28:29], v[116:117], s[14:15], v[158:159]
	v_add_f64 v[138:139], v[160:161], v[138:139]
	v_mul_f64 v[160:161], v[134:135], s[36:37]
	v_add_f64 v[24:25], v[28:29], v[16:17]
	v_fma_f64 v[162:163], v[118:119], s[6:7], -v[160:161]
	v_fma_f64 v[30:31], v[118:119], s[6:7], v[160:161]
	v_add_f64 v[136:137], v[162:163], v[136:137]
	v_mul_f64 v[162:163], v[92:93], s[0:1]
	v_add_f64 v[22:23], v[30:31], v[22:23]
	v_fma_f64 v[164:165], v[72:73], s[34:35], v[162:163]
	v_add_f64 v[110:111], v[164:165], v[110:111]
	v_mul_f64 v[164:165], v[94:95], s[34:35]
	v_fma_f64 v[166:167], v[74:75], s[0:1], -v[164:165]
	v_add_f64 v[108:109], v[166:167], v[108:109]
	v_mul_f64 v[166:167], v[120:121], s[6:7]
	v_fma_f64 v[168:169], v[100:101], s[36:37], v[166:167]
	v_add_f64 v[110:111], v[168:169], v[110:111]
	v_mul_f64 v[168:169], v[122:123], s[36:37]
	v_fma_f64 v[170:171], v[102:103], s[6:7], -v[168:169]
	v_add_f64 v[108:109], v[170:171], v[108:109]
	v_mul_f64 v[170:171], v[124:125], s[4:5]
	;; [unrolled: 6-line block ×5, first 2 shown]
	v_mul_f64 v[92:93], v[92:93], s[4:5]
	v_fma_f64 v[184:185], v[72:73], s[36:37], v[182:183]
	v_add_f64 v[98:99], v[184:185], v[98:99]
	v_mul_f64 v[184:185], v[94:95], s[36:37]
	v_mul_f64 v[94:95], v[94:95], s[12:13]
	v_fma_f64 v[186:187], v[74:75], s[6:7], -v[184:185]
	v_add_f64 v[96:97], v[186:187], v[96:97]
	v_mul_f64 v[186:187], v[120:121], s[0:1]
	v_mul_f64 v[120:121], v[120:121], s[24:25]
	v_fma_f64 v[188:189], v[100:101], s[10:11], v[186:187]
	v_add_f64 v[98:99], v[188:189], v[98:99]
	v_mul_f64 v[188:189], v[122:123], s[10:11]
	v_mul_f64 v[122:123], v[122:123], s[38:39]
	v_fma_f64 v[190:191], v[102:103], s[0:1], -v[188:189]
	v_add_f64 v[96:97], v[190:191], v[96:97]
	v_mul_f64 v[190:191], v[124:125], s[24:25]
	;; [unrolled: 8-line block ×4, first 2 shown]
	v_mul_f64 v[132:133], v[132:133], s[16:17]
	v_fma_f64 v[200:201], v[116:117], s[28:29], v[198:199]
	v_add_f64 v[98:99], v[200:201], v[98:99]
	v_mul_f64 v[200:201], v[134:135], s[28:29]
	v_mul_f64 v[134:135], v[134:135], s[20:21]
	v_fma_f64 v[202:203], v[118:119], s[4:5], -v[200:201]
	v_add_f64 v[96:97], v[202:203], v[96:97]
	v_fma_f64 v[202:203], v[72:73], s[12:13], v[92:93]
	v_fma_f64 v[92:93], v[72:73], s[28:29], v[92:93]
	v_add_f64 v[90:91], v[202:203], v[90:91]
	v_add_f64 v[86:87], v[92:93], v[86:87]
	v_fma_f64 v[92:93], v[74:75], s[4:5], v[94:95]
	v_fma_f64 v[202:203], v[74:75], s[4:5], -v[94:95]
	v_fma_f64 v[94:95], v[118:119], s[16:17], v[134:135]
	v_add_f64 v[84:85], v[92:93], v[84:85]
	v_fma_f64 v[92:93], v[100:101], s[26:27], v[120:121]
	v_add_f64 v[88:89], v[202:203], v[88:89]
	;; [unrolled: 2-line block ×4, first 2 shown]
	v_fma_f64 v[202:203], v[102:103], s[24:25], -v[122:123]
	v_add_f64 v[84:85], v[92:93], v[84:85]
	v_fma_f64 v[92:93], v[104:105], s[18:19], v[124:125]
	v_add_f64 v[88:89], v[202:203], v[88:89]
	v_fma_f64 v[202:203], v[104:105], s[22:23], v[124:125]
	;; [unrolled: 2-line block ×3, first 2 shown]
	v_add_f64 v[90:91], v[202:203], v[90:91]
	v_fma_f64 v[202:203], v[106:107], s[8:9], -v[126:127]
	v_add_f64 v[84:85], v[92:93], v[84:85]
	v_fma_f64 v[92:93], v[112:113], s[36:37], v[128:129]
	v_add_f64 v[88:89], v[202:203], v[88:89]
	v_fma_f64 v[202:203], v[112:113], s[14:15], v[128:129]
	;; [unrolled: 2-line block ×3, first 2 shown]
	v_add_f64 v[90:91], v[202:203], v[90:91]
	v_fma_f64 v[202:203], v[114:115], s[6:7], -v[130:131]
	v_add_f64 v[84:85], v[92:93], v[84:85]
	v_fma_f64 v[92:93], v[116:117], s[30:31], v[132:133]
	v_add_f64 v[88:89], v[202:203], v[88:89]
	v_fma_f64 v[202:203], v[116:117], s[20:21], v[132:133]
	v_add_f64 v[84:85], v[94:95], v[84:85]
	v_add_f64 v[86:87], v[92:93], v[86:87]
	v_fma_f64 v[92:93], v[72:73], s[14:15], v[182:183]
	v_fma_f64 v[94:95], v[118:119], s[4:5], v[200:201]
	v_add_f64 v[90:91], v[202:203], v[90:91]
	v_fma_f64 v[202:203], v[118:119], s[16:17], -v[134:135]
	v_add_f64 v[82:83], v[92:93], v[82:83]
	v_fma_f64 v[92:93], v[74:75], s[6:7], v[184:185]
	v_add_f64 v[88:89], v[202:203], v[88:89]
	v_add_f64 v[80:81], v[92:93], v[80:81]
	v_fma_f64 v[92:93], v[100:101], s[34:35], v[186:187]
	v_add_f64 v[82:83], v[92:93], v[82:83]
	v_fma_f64 v[92:93], v[102:103], s[0:1], v[188:189]
	;; [unrolled: 2-line block ×7, first 2 shown]
	v_add_f64 v[80:81], v[94:95], v[80:81]
	v_add_f64 v[82:83], v[92:93], v[82:83]
	v_fma_f64 v[92:93], v[72:73], s[10:11], v[162:163]
	v_fma_f64 v[94:95], v[118:119], s[24:25], v[180:181]
	v_add_f64 v[78:79], v[92:93], v[78:79]
	v_fma_f64 v[92:93], v[74:75], s[0:1], v[164:165]
	v_add_f64 v[76:77], v[92:93], v[76:77]
	;; [unrolled: 2-line block ×9, first 2 shown]
	v_add_f64 v[78:79], v[92:93], v[78:79]
	ds_write_b128 v53, v[136:139] offset:800
	ds_write_b128 v53, v[108:111] offset:1600
	;; [unrolled: 1-line block ×11, first 2 shown]
	ds_write_b128 v143, v[18:21]
	ds_write_b128 v53, v[22:25] offset:9600
.LBB0_20:
	s_or_b32 exec_lo, exec_lo, s33
	s_waitcnt lgkmcnt(0)
	s_barrier
	buffer_gl0_inv
	s_and_saveexec_b32 s0, vcc_lo
	s_cbranch_execz .LBB0_22
; %bb.21:
	v_mov_b32_e32 v53, 0
	v_lshl_add_u32 v30, v52, 4, v142
	v_add_nc_u32_e32 v8, 0x41, v52
	v_add_co_u32 v31, vcc_lo, s2, v54
	v_mov_b32_e32 v9, v53
	v_lshlrev_b64 v[12:13], 4, v[52:53]
	ds_read_b128 v[0:3], v30
	ds_read_b128 v[4:7], v30 offset:1040
	v_add_co_ci_u32_e32 v32, vcc_lo, s3, v55, vcc_lo
	v_lshlrev_b64 v[14:15], 4, v[8:9]
	ds_read_b128 v[8:11], v30 offset:2080
	v_add_nc_u32_e32 v16, 0x82, v52
	v_mov_b32_e32 v17, v53
	v_add_co_u32 v20, vcc_lo, v31, v12
	v_add_co_ci_u32_e32 v21, vcc_lo, v32, v13, vcc_lo
	v_lshlrev_b64 v[12:13], 4, v[16:17]
	v_add_nc_u32_e32 v16, 0xc3, v52
	v_add_co_u32 v22, vcc_lo, v31, v14
	v_add_co_ci_u32_e32 v23, vcc_lo, v32, v15, vcc_lo
	v_lshlrev_b64 v[26:27], 4, v[16:17]
	ds_read_b128 v[16:19], v30 offset:4160
	v_add_co_u32 v24, vcc_lo, v31, v12
	v_add_nc_u32_e32 v28, 0x104, v52
	v_mov_b32_e32 v29, v53
	v_add_co_ci_u32_e32 v25, vcc_lo, v32, v13, vcc_lo
	ds_read_b128 v[12:15], v30 offset:3120
	s_waitcnt lgkmcnt(4)
	global_store_dwordx4 v[20:21], v[0:3], off
	s_waitcnt lgkmcnt(3)
	global_store_dwordx4 v[22:23], v[4:7], off
	;; [unrolled: 2-line block ×3, first 2 shown]
	v_lshlrev_b64 v[0:1], 4, v[28:29]
	v_add_co_u32 v2, vcc_lo, v31, v26
	v_add_co_ci_u32_e32 v3, vcc_lo, v32, v27, vcc_lo
	v_add_nc_u32_e32 v4, 0x145, v52
	v_mov_b32_e32 v5, v53
	v_add_co_u32 v6, vcc_lo, v31, v0
	v_add_co_ci_u32_e32 v7, vcc_lo, v32, v1, vcc_lo
	v_add_nc_u32_e32 v8, 0x186, v52
	v_mov_b32_e32 v9, v53
	v_lshlrev_b64 v[4:5], 4, v[4:5]
	s_waitcnt lgkmcnt(1)
	global_store_dwordx4 v[6:7], v[16:19], off
	v_add_nc_u32_e32 v24, 0x208, v52
	v_mov_b32_e32 v25, v53
	v_lshlrev_b64 v[6:7], 4, v[8:9]
	s_waitcnt lgkmcnt(0)
	global_store_dwordx4 v[2:3], v[12:15], off
	v_add_co_u32 v20, vcc_lo, v31, v4
	v_add_nc_u32_e32 v12, 0x1c7, v52
	v_mov_b32_e32 v13, v53
	v_add_co_ci_u32_e32 v21, vcc_lo, v32, v5, vcc_lo
	v_add_co_u32 v22, vcc_lo, v31, v6
	ds_read_b128 v[0:3], v30 offset:5200
	v_add_co_ci_u32_e32 v23, vcc_lo, v32, v7, vcc_lo
	ds_read_b128 v[4:7], v30 offset:6240
	ds_read_b128 v[8:11], v30 offset:7280
	v_lshlrev_b64 v[26:27], 4, v[12:13]
	ds_read_b128 v[12:15], v30 offset:8320
	ds_read_b128 v[16:19], v30 offset:9360
	v_add_nc_u32_e32 v52, 0x249, v52
	v_lshlrev_b64 v[24:25], 4, v[24:25]
	v_add_co_u32 v26, vcc_lo, v31, v26
	v_lshlrev_b64 v[28:29], 4, v[52:53]
	v_add_co_ci_u32_e32 v27, vcc_lo, v32, v27, vcc_lo
	v_add_co_u32 v24, vcc_lo, v31, v24
	v_add_co_ci_u32_e32 v25, vcc_lo, v32, v25, vcc_lo
	v_add_co_u32 v28, vcc_lo, v31, v28
	v_add_co_ci_u32_e32 v29, vcc_lo, v32, v29, vcc_lo
	s_waitcnt lgkmcnt(4)
	global_store_dwordx4 v[20:21], v[0:3], off
	s_waitcnt lgkmcnt(3)
	global_store_dwordx4 v[22:23], v[4:7], off
	s_waitcnt lgkmcnt(2)
	global_store_dwordx4 v[26:27], v[8:11], off
	s_waitcnt lgkmcnt(1)
	global_store_dwordx4 v[24:25], v[12:15], off
	s_waitcnt lgkmcnt(0)
	global_store_dwordx4 v[28:29], v[16:19], off
.LBB0_22:
	s_endpgm
	.section	.rodata,"a",@progbits
	.p2align	6, 0x0
	.amdhsa_kernel fft_rtc_fwd_len650_factors_10_5_13_wgs_195_tpt_65_dp_ip_CI_unitstride_sbrr_C2R_dirReg
		.amdhsa_group_segment_fixed_size 0
		.amdhsa_private_segment_fixed_size 0
		.amdhsa_kernarg_size 88
		.amdhsa_user_sgpr_count 6
		.amdhsa_user_sgpr_private_segment_buffer 1
		.amdhsa_user_sgpr_dispatch_ptr 0
		.amdhsa_user_sgpr_queue_ptr 0
		.amdhsa_user_sgpr_kernarg_segment_ptr 1
		.amdhsa_user_sgpr_dispatch_id 0
		.amdhsa_user_sgpr_flat_scratch_init 0
		.amdhsa_user_sgpr_private_segment_size 0
		.amdhsa_wavefront_size32 1
		.amdhsa_uses_dynamic_stack 0
		.amdhsa_system_sgpr_private_segment_wavefront_offset 0
		.amdhsa_system_sgpr_workgroup_id_x 1
		.amdhsa_system_sgpr_workgroup_id_y 0
		.amdhsa_system_sgpr_workgroup_id_z 0
		.amdhsa_system_sgpr_workgroup_info 0
		.amdhsa_system_vgpr_workitem_id 0
		.amdhsa_next_free_vgpr 204
		.amdhsa_next_free_sgpr 40
		.amdhsa_reserve_vcc 1
		.amdhsa_reserve_flat_scratch 0
		.amdhsa_float_round_mode_32 0
		.amdhsa_float_round_mode_16_64 0
		.amdhsa_float_denorm_mode_32 3
		.amdhsa_float_denorm_mode_16_64 3
		.amdhsa_dx10_clamp 1
		.amdhsa_ieee_mode 1
		.amdhsa_fp16_overflow 0
		.amdhsa_workgroup_processor_mode 1
		.amdhsa_memory_ordered 1
		.amdhsa_forward_progress 0
		.amdhsa_shared_vgpr_count 0
		.amdhsa_exception_fp_ieee_invalid_op 0
		.amdhsa_exception_fp_denorm_src 0
		.amdhsa_exception_fp_ieee_div_zero 0
		.amdhsa_exception_fp_ieee_overflow 0
		.amdhsa_exception_fp_ieee_underflow 0
		.amdhsa_exception_fp_ieee_inexact 0
		.amdhsa_exception_int_div_zero 0
	.end_amdhsa_kernel
	.text
.Lfunc_end0:
	.size	fft_rtc_fwd_len650_factors_10_5_13_wgs_195_tpt_65_dp_ip_CI_unitstride_sbrr_C2R_dirReg, .Lfunc_end0-fft_rtc_fwd_len650_factors_10_5_13_wgs_195_tpt_65_dp_ip_CI_unitstride_sbrr_C2R_dirReg
                                        ; -- End function
	.section	.AMDGPU.csdata,"",@progbits
; Kernel info:
; codeLenInByte = 10636
; NumSgprs: 42
; NumVgprs: 204
; ScratchSize: 0
; MemoryBound: 0
; FloatMode: 240
; IeeeMode: 1
; LDSByteSize: 0 bytes/workgroup (compile time only)
; SGPRBlocks: 5
; VGPRBlocks: 25
; NumSGPRsForWavesPerEU: 42
; NumVGPRsForWavesPerEU: 204
; Occupancy: 4
; WaveLimiterHint : 1
; COMPUTE_PGM_RSRC2:SCRATCH_EN: 0
; COMPUTE_PGM_RSRC2:USER_SGPR: 6
; COMPUTE_PGM_RSRC2:TRAP_HANDLER: 0
; COMPUTE_PGM_RSRC2:TGID_X_EN: 1
; COMPUTE_PGM_RSRC2:TGID_Y_EN: 0
; COMPUTE_PGM_RSRC2:TGID_Z_EN: 0
; COMPUTE_PGM_RSRC2:TIDIG_COMP_CNT: 0
	.text
	.p2alignl 6, 3214868480
	.fill 48, 4, 3214868480
	.type	__hip_cuid_40e9d080188cee96,@object ; @__hip_cuid_40e9d080188cee96
	.section	.bss,"aw",@nobits
	.globl	__hip_cuid_40e9d080188cee96
__hip_cuid_40e9d080188cee96:
	.byte	0                               ; 0x0
	.size	__hip_cuid_40e9d080188cee96, 1

	.ident	"AMD clang version 19.0.0git (https://github.com/RadeonOpenCompute/llvm-project roc-6.4.0 25133 c7fe45cf4b819c5991fe208aaa96edf142730f1d)"
	.section	".note.GNU-stack","",@progbits
	.addrsig
	.addrsig_sym __hip_cuid_40e9d080188cee96
	.amdgpu_metadata
---
amdhsa.kernels:
  - .args:
      - .actual_access:  read_only
        .address_space:  global
        .offset:         0
        .size:           8
        .value_kind:     global_buffer
      - .offset:         8
        .size:           8
        .value_kind:     by_value
      - .actual_access:  read_only
        .address_space:  global
        .offset:         16
        .size:           8
        .value_kind:     global_buffer
      - .actual_access:  read_only
        .address_space:  global
        .offset:         24
        .size:           8
        .value_kind:     global_buffer
      - .offset:         32
        .size:           8
        .value_kind:     by_value
      - .actual_access:  read_only
        .address_space:  global
        .offset:         40
        .size:           8
        .value_kind:     global_buffer
      - .actual_access:  read_only
        .address_space:  global
        .offset:         48
        .size:           8
        .value_kind:     global_buffer
      - .offset:         56
        .size:           4
        .value_kind:     by_value
      - .actual_access:  read_only
        .address_space:  global
        .offset:         64
        .size:           8
        .value_kind:     global_buffer
      - .actual_access:  read_only
        .address_space:  global
        .offset:         72
        .size:           8
        .value_kind:     global_buffer
      - .address_space:  global
        .offset:         80
        .size:           8
        .value_kind:     global_buffer
    .group_segment_fixed_size: 0
    .kernarg_segment_align: 8
    .kernarg_segment_size: 88
    .language:       OpenCL C
    .language_version:
      - 2
      - 0
    .max_flat_workgroup_size: 195
    .name:           fft_rtc_fwd_len650_factors_10_5_13_wgs_195_tpt_65_dp_ip_CI_unitstride_sbrr_C2R_dirReg
    .private_segment_fixed_size: 0
    .sgpr_count:     42
    .sgpr_spill_count: 0
    .symbol:         fft_rtc_fwd_len650_factors_10_5_13_wgs_195_tpt_65_dp_ip_CI_unitstride_sbrr_C2R_dirReg.kd
    .uniform_work_group_size: 1
    .uses_dynamic_stack: false
    .vgpr_count:     204
    .vgpr_spill_count: 0
    .wavefront_size: 32
    .workgroup_processor_mode: 1
amdhsa.target:   amdgcn-amd-amdhsa--gfx1030
amdhsa.version:
  - 1
  - 2
...

	.end_amdgpu_metadata
